;; amdgpu-corpus repo=ROCm/rocFFT kind=compiled arch=gfx906 opt=O3
	.text
	.amdgcn_target "amdgcn-amd-amdhsa--gfx906"
	.amdhsa_code_object_version 6
	.protected	fft_rtc_fwd_len1250_factors_5_10_5_5_wgs_250_tpt_250_halfLds_half_op_CI_CI_unitstride_sbrr_R2C_dirReg ; -- Begin function fft_rtc_fwd_len1250_factors_5_10_5_5_wgs_250_tpt_250_halfLds_half_op_CI_CI_unitstride_sbrr_R2C_dirReg
	.globl	fft_rtc_fwd_len1250_factors_5_10_5_5_wgs_250_tpt_250_halfLds_half_op_CI_CI_unitstride_sbrr_R2C_dirReg
	.p2align	8
	.type	fft_rtc_fwd_len1250_factors_5_10_5_5_wgs_250_tpt_250_halfLds_half_op_CI_CI_unitstride_sbrr_R2C_dirReg,@function
fft_rtc_fwd_len1250_factors_5_10_5_5_wgs_250_tpt_250_halfLds_half_op_CI_CI_unitstride_sbrr_R2C_dirReg: ; @fft_rtc_fwd_len1250_factors_5_10_5_5_wgs_250_tpt_250_halfLds_half_op_CI_CI_unitstride_sbrr_R2C_dirReg
; %bb.0:
	s_load_dwordx4 s[8:11], s[4:5], 0x58
	s_load_dwordx4 s[12:15], s[4:5], 0x0
	;; [unrolled: 1-line block ×3, first 2 shown]
	v_mul_u32_u24_e32 v1, 0x107, v0
	v_mov_b32_e32 v8, 0
	v_mov_b32_e32 v6, 0
	s_waitcnt lgkmcnt(0)
	v_cmp_lt_u64_e64 s[0:1], s[14:15], 2
	v_add_u32_sdwa v10, s6, v1 dst_sel:DWORD dst_unused:UNUSED_PAD src0_sel:DWORD src1_sel:WORD_1
	v_mov_b32_e32 v11, v8
	s_and_b64 vcc, exec, s[0:1]
	v_mov_b32_e32 v7, 0
	s_cbranch_vccnz .LBB0_8
; %bb.1:
	s_load_dwordx2 s[0:1], s[4:5], 0x10
	s_add_u32 s2, s18, 8
	s_addc_u32 s3, s19, 0
	s_add_u32 s6, s16, 8
	s_addc_u32 s7, s17, 0
	v_mov_b32_e32 v6, 0
	s_waitcnt lgkmcnt(0)
	s_add_u32 s20, s0, 8
	v_mov_b32_e32 v7, 0
	v_mov_b32_e32 v1, v6
	s_addc_u32 s21, s1, 0
	s_mov_b64 s[22:23], 1
	v_mov_b32_e32 v2, v7
.LBB0_2:                                ; =>This Inner Loop Header: Depth=1
	s_load_dwordx2 s[24:25], s[20:21], 0x0
                                        ; implicit-def: $vgpr3_vgpr4
	s_waitcnt lgkmcnt(0)
	v_or_b32_e32 v9, s25, v11
	v_cmp_ne_u64_e32 vcc, 0, v[8:9]
	s_and_saveexec_b64 s[0:1], vcc
	s_xor_b64 s[26:27], exec, s[0:1]
	s_cbranch_execz .LBB0_4
; %bb.3:                                ;   in Loop: Header=BB0_2 Depth=1
	v_cvt_f32_u32_e32 v3, s24
	v_cvt_f32_u32_e32 v4, s25
	s_sub_u32 s0, 0, s24
	s_subb_u32 s1, 0, s25
	v_mac_f32_e32 v3, 0x4f800000, v4
	v_rcp_f32_e32 v3, v3
	v_mul_f32_e32 v3, 0x5f7ffffc, v3
	v_mul_f32_e32 v4, 0x2f800000, v3
	v_trunc_f32_e32 v4, v4
	v_mac_f32_e32 v3, 0xcf800000, v4
	v_cvt_u32_f32_e32 v4, v4
	v_cvt_u32_f32_e32 v3, v3
	v_mul_lo_u32 v5, s0, v4
	v_mul_hi_u32 v9, s0, v3
	v_mul_lo_u32 v13, s1, v3
	v_mul_lo_u32 v12, s0, v3
	v_add_u32_e32 v5, v9, v5
	v_add_u32_e32 v5, v5, v13
	v_mul_hi_u32 v9, v3, v12
	v_mul_lo_u32 v13, v3, v5
	v_mul_hi_u32 v15, v3, v5
	v_mul_hi_u32 v14, v4, v12
	v_mul_lo_u32 v12, v4, v12
	v_mul_hi_u32 v16, v4, v5
	v_add_co_u32_e32 v9, vcc, v9, v13
	v_addc_co_u32_e32 v13, vcc, 0, v15, vcc
	v_mul_lo_u32 v5, v4, v5
	v_add_co_u32_e32 v9, vcc, v9, v12
	v_addc_co_u32_e32 v9, vcc, v13, v14, vcc
	v_addc_co_u32_e32 v12, vcc, 0, v16, vcc
	v_add_co_u32_e32 v5, vcc, v9, v5
	v_addc_co_u32_e32 v9, vcc, 0, v12, vcc
	v_add_co_u32_e32 v3, vcc, v3, v5
	v_addc_co_u32_e32 v4, vcc, v4, v9, vcc
	v_mul_lo_u32 v5, s0, v4
	v_mul_hi_u32 v9, s0, v3
	v_mul_lo_u32 v12, s1, v3
	v_mul_lo_u32 v13, s0, v3
	v_add_u32_e32 v5, v9, v5
	v_add_u32_e32 v5, v5, v12
	v_mul_lo_u32 v14, v3, v5
	v_mul_hi_u32 v15, v3, v13
	v_mul_hi_u32 v16, v3, v5
	v_mul_hi_u32 v12, v4, v13
	v_mul_lo_u32 v13, v4, v13
	v_mul_hi_u32 v9, v4, v5
	v_add_co_u32_e32 v14, vcc, v15, v14
	v_addc_co_u32_e32 v15, vcc, 0, v16, vcc
	v_mul_lo_u32 v5, v4, v5
	v_add_co_u32_e32 v13, vcc, v14, v13
	v_addc_co_u32_e32 v12, vcc, v15, v12, vcc
	v_addc_co_u32_e32 v9, vcc, 0, v9, vcc
	v_add_co_u32_e32 v5, vcc, v12, v5
	v_addc_co_u32_e32 v9, vcc, 0, v9, vcc
	v_add_co_u32_e32 v5, vcc, v3, v5
	v_addc_co_u32_e32 v9, vcc, v4, v9, vcc
	v_mad_u64_u32 v[3:4], s[0:1], v10, v9, 0
	v_mul_hi_u32 v12, v10, v5
	v_add_co_u32_e32 v14, vcc, v12, v3
	v_addc_co_u32_e32 v15, vcc, 0, v4, vcc
	v_mad_u64_u32 v[3:4], s[0:1], v11, v5, 0
	v_mad_u64_u32 v[12:13], s[0:1], v11, v9, 0
	v_add_co_u32_e32 v3, vcc, v14, v3
	v_addc_co_u32_e32 v3, vcc, v15, v4, vcc
	v_addc_co_u32_e32 v4, vcc, 0, v13, vcc
	v_add_co_u32_e32 v5, vcc, v3, v12
	v_addc_co_u32_e32 v9, vcc, 0, v4, vcc
	v_mul_lo_u32 v12, s25, v5
	v_mul_lo_u32 v13, s24, v9
	v_mad_u64_u32 v[3:4], s[0:1], s24, v5, 0
	v_add3_u32 v4, v4, v13, v12
	v_sub_u32_e32 v12, v11, v4
	v_mov_b32_e32 v13, s25
	v_sub_co_u32_e32 v3, vcc, v10, v3
	v_subb_co_u32_e64 v12, s[0:1], v12, v13, vcc
	v_subrev_co_u32_e64 v13, s[0:1], s24, v3
	v_subbrev_co_u32_e64 v12, s[0:1], 0, v12, s[0:1]
	v_cmp_le_u32_e64 s[0:1], s25, v12
	v_cndmask_b32_e64 v14, 0, -1, s[0:1]
	v_cmp_le_u32_e64 s[0:1], s24, v13
	v_cndmask_b32_e64 v13, 0, -1, s[0:1]
	v_cmp_eq_u32_e64 s[0:1], s25, v12
	v_cndmask_b32_e64 v12, v14, v13, s[0:1]
	v_add_co_u32_e64 v13, s[0:1], 2, v5
	v_addc_co_u32_e64 v14, s[0:1], 0, v9, s[0:1]
	v_add_co_u32_e64 v15, s[0:1], 1, v5
	v_addc_co_u32_e64 v16, s[0:1], 0, v9, s[0:1]
	v_subb_co_u32_e32 v4, vcc, v11, v4, vcc
	v_cmp_ne_u32_e64 s[0:1], 0, v12
	v_cmp_le_u32_e32 vcc, s25, v4
	v_cndmask_b32_e64 v12, v16, v14, s[0:1]
	v_cndmask_b32_e64 v14, 0, -1, vcc
	v_cmp_le_u32_e32 vcc, s24, v3
	v_cndmask_b32_e64 v3, 0, -1, vcc
	v_cmp_eq_u32_e32 vcc, s25, v4
	v_cndmask_b32_e32 v3, v14, v3, vcc
	v_cmp_ne_u32_e32 vcc, 0, v3
	v_cndmask_b32_e64 v3, v15, v13, s[0:1]
	v_cndmask_b32_e32 v4, v9, v12, vcc
	v_cndmask_b32_e32 v3, v5, v3, vcc
.LBB0_4:                                ;   in Loop: Header=BB0_2 Depth=1
	s_andn2_saveexec_b64 s[0:1], s[26:27]
	s_cbranch_execz .LBB0_6
; %bb.5:                                ;   in Loop: Header=BB0_2 Depth=1
	v_cvt_f32_u32_e32 v3, s24
	s_sub_i32 s26, 0, s24
	v_rcp_iflag_f32_e32 v3, v3
	v_mul_f32_e32 v3, 0x4f7ffffe, v3
	v_cvt_u32_f32_e32 v3, v3
	v_mul_lo_u32 v4, s26, v3
	v_mul_hi_u32 v4, v3, v4
	v_add_u32_e32 v3, v3, v4
	v_mul_hi_u32 v3, v10, v3
	v_mul_lo_u32 v4, v3, s24
	v_add_u32_e32 v5, 1, v3
	v_sub_u32_e32 v4, v10, v4
	v_subrev_u32_e32 v9, s24, v4
	v_cmp_le_u32_e32 vcc, s24, v4
	v_cndmask_b32_e32 v4, v4, v9, vcc
	v_cndmask_b32_e32 v3, v3, v5, vcc
	v_add_u32_e32 v5, 1, v3
	v_cmp_le_u32_e32 vcc, s24, v4
	v_cndmask_b32_e32 v3, v3, v5, vcc
	v_mov_b32_e32 v4, v8
.LBB0_6:                                ;   in Loop: Header=BB0_2 Depth=1
	s_or_b64 exec, exec, s[0:1]
	v_mul_lo_u32 v5, v4, s24
	v_mul_lo_u32 v9, v3, s25
	v_mad_u64_u32 v[12:13], s[0:1], v3, s24, 0
	s_load_dwordx2 s[0:1], s[6:7], 0x0
	s_load_dwordx2 s[24:25], s[2:3], 0x0
	v_add3_u32 v5, v13, v9, v5
	v_sub_co_u32_e32 v9, vcc, v10, v12
	v_subb_co_u32_e32 v5, vcc, v11, v5, vcc
	s_waitcnt lgkmcnt(0)
	v_mul_lo_u32 v10, s0, v5
	v_mul_lo_u32 v11, s1, v9
	v_mad_u64_u32 v[6:7], s[0:1], s0, v9, v[6:7]
	s_add_u32 s22, s22, 1
	s_addc_u32 s23, s23, 0
	s_add_u32 s2, s2, 8
	v_mul_lo_u32 v5, s24, v5
	v_mul_lo_u32 v12, s25, v9
	v_mad_u64_u32 v[1:2], s[0:1], s24, v9, v[1:2]
	v_add3_u32 v7, v11, v7, v10
	s_addc_u32 s3, s3, 0
	v_mov_b32_e32 v9, s14
	s_add_u32 s6, s6, 8
	v_mov_b32_e32 v10, s15
	s_addc_u32 s7, s7, 0
	v_cmp_ge_u64_e32 vcc, s[22:23], v[9:10]
	s_add_u32 s20, s20, 8
	v_add3_u32 v2, v12, v2, v5
	s_addc_u32 s21, s21, 0
	s_cbranch_vccnz .LBB0_9
; %bb.7:                                ;   in Loop: Header=BB0_2 Depth=1
	v_mov_b32_e32 v11, v4
	v_mov_b32_e32 v10, v3
	s_branch .LBB0_2
.LBB0_8:
	v_mov_b32_e32 v1, v6
	v_mov_b32_e32 v3, v10
	;; [unrolled: 1-line block ×4, first 2 shown]
.LBB0_9:
	s_load_dwordx2 s[0:1], s[4:5], 0x28
	s_lshl_b64 s[6:7], s[14:15], 3
	s_add_u32 s2, s18, s6
	s_addc_u32 s3, s19, s7
                                        ; implicit-def: $vgpr5
	s_waitcnt lgkmcnt(0)
	v_cmp_gt_u64_e32 vcc, s[0:1], v[3:4]
	v_cmp_le_u64_e64 s[0:1], s[0:1], v[3:4]
	s_and_saveexec_b64 s[4:5], s[0:1]
	s_xor_b64 s[0:1], exec, s[4:5]
; %bb.10:
	s_mov_b32 s4, 0x10624de
	v_mul_hi_u32 v5, v0, s4
                                        ; implicit-def: $vgpr6_vgpr7
	v_mul_u32_u24_e32 v5, 0xfa, v5
	v_sub_u32_e32 v5, v0, v5
                                        ; implicit-def: $vgpr0
; %bb.11:
	s_andn2_saveexec_b64 s[4:5], s[0:1]
	s_cbranch_execz .LBB0_13
; %bb.12:
	s_add_u32 s0, s16, s6
	s_addc_u32 s1, s17, s7
	s_load_dwordx2 s[0:1], s[0:1], 0x0
	s_mov_b32 s6, 0x10624de
	v_mul_hi_u32 v5, v0, s6
	v_lshlrev_b64 v[6:7], 2, v[6:7]
	s_waitcnt lgkmcnt(0)
	v_mul_lo_u32 v10, s1, v3
	v_mul_lo_u32 v11, s0, v4
	v_mad_u64_u32 v[8:9], s[0:1], s0, v3, 0
	v_mul_u32_u24_e32 v5, 0xfa, v5
	v_sub_u32_e32 v5, v0, v5
	v_add3_u32 v9, v9, v11, v10
	v_lshlrev_b64 v[8:9], 2, v[8:9]
	v_mov_b32_e32 v0, s9
	v_add_co_u32_e64 v8, s[0:1], s8, v8
	v_addc_co_u32_e64 v0, s[0:1], v0, v9, s[0:1]
	v_add_co_u32_e64 v6, s[0:1], v8, v6
	v_addc_co_u32_e64 v0, s[0:1], v0, v7, s[0:1]
	v_lshlrev_b32_e32 v8, 2, v5
	v_add_co_u32_e64 v6, s[0:1], v6, v8
	v_addc_co_u32_e64 v7, s[0:1], 0, v0, s[0:1]
	global_load_dword v0, v[6:7], off
	global_load_dword v9, v[6:7], off offset:1000
	global_load_dword v10, v[6:7], off offset:2000
	;; [unrolled: 1-line block ×4, first 2 shown]
	v_add_u32_e32 v6, 0, v8
	v_add_u32_e32 v7, 0x7c0, v6
	s_waitcnt vmcnt(3)
	ds_write2_b32 v6, v0, v9 offset1:250
	s_waitcnt vmcnt(1)
	ds_write2_b32 v7, v10, v11 offset0:4 offset1:254
	s_waitcnt vmcnt(0)
	ds_write_b32 v6, v12 offset:4000
.LBB0_13:
	s_or_b64 exec, exec, s[4:5]
	v_lshl_add_u32 v0, v5, 2, 0
	v_add_u32_e32 v6, 0x7c0, v0
	s_load_dwordx2 s[4:5], s[2:3], 0x0
	s_waitcnt lgkmcnt(0)
	s_barrier
	ds_read2_b32 v[10:11], v0 offset1:250
	ds_read2_b32 v[12:13], v6 offset0:4 offset1:254
	ds_read_b32 v7, v0 offset:4000
	s_movk_i32 s0, 0x3b9c
	s_movk_i32 s1, 0x38b4
	s_movk_i32 s2, 0x34f2
	s_waitcnt lgkmcnt(1)
	v_pk_add_f16 v18, v12, v13 neg_lo:[0,1] neg_hi:[0,1]
	s_waitcnt lgkmcnt(0)
	v_pk_add_f16 v8, v11, v7
	v_pk_fma_f16 v9, v8, 0.5, v10 op_sel_hi:[1,0,1] neg_lo:[1,0,0] neg_hi:[1,0,0]
	v_pk_add_f16 v16, v12, v11 neg_lo:[0,1] neg_hi:[0,1]
	v_pk_add_f16 v17, v13, v7 neg_lo:[0,1] neg_hi:[0,1]
	;; [unrolled: 1-line block ×3, first 2 shown]
	v_pk_fma_f16 v8, v18, s0, v9 op_sel:[0,0,1] op_sel_hi:[1,0,0] neg_lo:[1,0,0] neg_hi:[1,0,0]
	v_pk_add_f16 v16, v16, v17
	v_pk_fma_f16 v9, v18, s0, v9 op_sel:[0,0,1] op_sel_hi:[1,0,0]
	v_pk_fma_f16 v8, v15, s1, v8 op_sel_hi:[1,0,1]
	v_pk_mul_f16 v17, v16, s2 op_sel_hi:[1,0]
	v_pk_fma_f16 v9, v15, s1, v9 op_sel_hi:[1,0,1] neg_lo:[1,0,0] neg_hi:[1,0,0]
	v_pk_add_f16 v6, v10, v11
	v_pk_add_f16 v16, v17, v8 op_sel:[1,0] op_sel_hi:[0,1]
	v_pk_add_f16 v17, v17, v9 op_sel:[1,0] op_sel_hi:[0,1]
	v_pk_add_f16 v6, v6, v12
	v_lshl_add_u32 v14, v5, 4, v0
	v_alignbit_b32 v19, v16, v17, 16
	v_alignbit_b32 v20, v17, v16, 16
	v_pk_add_f16 v6, v6, v13
	s_barrier
	ds_write2_b32 v14, v20, v19 offset0:2 offset1:3
	v_pk_add_f16 v19, v12, v13
	v_pk_add_f16 v6, v6, v7
	v_pk_fma_f16 v10, v19, 0.5, v10 op_sel_hi:[1,0,1] neg_lo:[1,0,0] neg_hi:[1,0,0]
	v_pk_add_f16 v11, v11, v12 neg_lo:[0,1] neg_hi:[0,1]
	v_pk_add_f16 v7, v7, v13 neg_lo:[0,1] neg_hi:[0,1]
	v_pk_mul_f16 v12, v15, s0 op_sel_hi:[1,0]
	v_pk_add_f16 v11, v11, v7
	v_pk_add_f16 v7, v10, v12 op_sel:[0,1] op_sel_hi:[1,0]
	v_pk_mul_f16 v13, v18, s1 op_sel_hi:[1,0]
	v_pk_add_f16 v10, v10, v12 op_sel:[0,1] op_sel_hi:[1,0] neg_lo:[0,1] neg_hi:[0,1]
	v_pk_add_f16 v15, v13, v7 op_sel:[1,0] op_sel_hi:[0,1]
	v_pk_add_f16 v10, v10, v13 op_sel:[0,1] op_sel_hi:[1,0] neg_lo:[0,1] neg_hi:[0,1]
	s_mov_b32 s0, 0xffff
	v_pk_fma_f16 v7, v11, s2, v15 op_sel_hi:[1,0,1]
	v_pk_fma_f16 v12, v11, s2, v10 op_sel_hi:[1,0,1]
	v_bfi_b32 v10, s0, v10, v15
	v_pk_fma_f16 v10, v11, s2, v10 op_sel_hi:[1,0,1]
	v_bfi_b32 v11, s0, v7, v12
	s_movk_i32 s0, 0x7d
	v_lshrrev_b32_e32 v8, 16, v16
	v_lshrrev_b32_e32 v9, 16, v17
	;; [unrolled: 1-line block ×3, first 2 shown]
	v_cmp_gt_u32_e64 s[0:1], s0, v5
	v_lshrrev_b32_e32 v21, 16, v10
	ds_write2_b32 v14, v6, v11 offset1:1
	ds_write_b32 v14, v10 offset:16
	s_waitcnt lgkmcnt(0)
	s_barrier
	s_waitcnt lgkmcnt(0)
                                        ; implicit-def: $vgpr19
                                        ; implicit-def: $vgpr13
                                        ; implicit-def: $vgpr20
                                        ; implicit-def: $vgpr23
                                        ; implicit-def: $vgpr24
                                        ; implicit-def: $vgpr22
                                        ; implicit-def: $vgpr15
	s_and_saveexec_b64 s[2:3], s[0:1]
	s_cbranch_execz .LBB0_15
; %bb.14:
	v_add_u32_e32 v10, 0xe00, v0
	v_add_u32_e32 v8, 0x200, v0
	ds_read2_b32 v[12:13], v10 offset0:104 offset1:229
	v_add_u32_e32 v10, 0x600, v0
	v_add_u32_e32 v14, 0xa00, v0
	ds_read2_b32 v[6:7], v0 offset1:125
	ds_read2_b32 v[8:9], v8 offset0:122 offset1:247
	ds_read2_b32 v[10:11], v10 offset0:116 offset1:241
	;; [unrolled: 1-line block ×3, first 2 shown]
	s_waitcnt lgkmcnt(4)
	v_lshrrev_b32_e32 v20, 16, v12
	v_lshrrev_b32_e32 v19, 16, v13
	s_waitcnt lgkmcnt(3)
	v_lshrrev_b32_e32 v18, 16, v7
	s_waitcnt lgkmcnt(2)
	v_lshrrev_b32_e32 v17, 16, v8
	v_lshrrev_b32_e32 v16, 16, v9
	s_waitcnt lgkmcnt(1)
	v_lshrrev_b32_e32 v21, 16, v10
	;; [unrolled: 3-line block ×3, first 2 shown]
	v_lshrrev_b32_e32 v23, 16, v15
.LBB0_15:
	s_or_b64 exec, exec, s[2:3]
	s_barrier
	s_and_saveexec_b64 s[2:3], s[0:1]
	s_cbranch_execz .LBB0_17
; %bb.16:
	s_movk_i32 s6, 0xcd
	v_mul_lo_u16_sdwa v25, v5, s6 dst_sel:DWORD dst_unused:UNUSED_PAD src0_sel:BYTE_0 src1_sel:DWORD
	v_lshrrev_b16_e32 v33, 10, v25
	v_mul_lo_u16_e32 v25, 5, v33
	v_sub_u16_e32 v34, v5, v25
	v_mov_b32_e32 v25, 9
	v_mul_u32_u24_sdwa v25, v34, v25 dst_sel:DWORD dst_unused:UNUSED_PAD src0_sel:BYTE_0 src1_sel:DWORD
	v_lshlrev_b32_e32 v35, 2, v25
	global_load_dwordx4 v[25:28], v35, s[12:13] offset:16
	global_load_dwordx4 v[29:32], v35, s[12:13]
	global_load_dword v36, v35, s[12:13] offset:32
	v_lshrrev_b32_e32 v35, 16, v6
	s_movk_i32 s8, 0x3b9c
	s_mov_b32 s14, 0xbb9c
	s_movk_i32 s7, 0x38b4
	s_mov_b32 s9, 0xb8b4
	s_movk_i32 s6, 0x34f2
	s_waitcnt vmcnt(2)
	v_mul_f16_sdwa v37, v24, v26 dst_sel:DWORD dst_unused:UNUSED_PAD src0_sel:DWORD src1_sel:WORD_1
	v_mul_f16_sdwa v38, v23, v27 dst_sel:DWORD dst_unused:UNUSED_PAD src0_sel:DWORD src1_sel:WORD_1
	;; [unrolled: 1-line block ×7, first 2 shown]
	s_waitcnt vmcnt(1)
	v_mul_f16_sdwa v46, v10, v32 dst_sel:DWORD dst_unused:UNUSED_PAD src0_sel:DWORD src1_sel:WORD_1
	v_fma_f16 v14, v14, v26, -v37
	v_fma_f16 v15, v15, v27, -v38
	v_mul_f16_sdwa v37, v16, v31 dst_sel:DWORD dst_unused:UNUSED_PAD src0_sel:DWORD src1_sel:WORD_1
	v_mul_f16_sdwa v38, v8, v30 dst_sel:DWORD dst_unused:UNUSED_PAD src0_sel:DWORD src1_sel:WORD_1
	v_fma_f16 v24, v24, v26, v39
	v_mul_f16_sdwa v26, v9, v31 dst_sel:DWORD dst_unused:UNUSED_PAD src0_sel:DWORD src1_sel:WORD_1
	v_fma_f16 v23, v23, v27, v40
	v_fma_f16 v22, v22, v25, v43
	s_waitcnt vmcnt(0)
	v_mul_f16_sdwa v40, v19, v36 dst_sel:DWORD dst_unused:UNUSED_PAD src0_sel:DWORD src1_sel:WORD_1
	v_fma_f16 v11, v11, v25, -v44
	v_mul_f16_sdwa v25, v13, v36 dst_sel:DWORD dst_unused:UNUSED_PAD src0_sel:DWORD src1_sel:WORD_1
	v_mul_f16_sdwa v42, v20, v28 dst_sel:DWORD dst_unused:UNUSED_PAD src0_sel:DWORD src1_sel:WORD_1
	;; [unrolled: 1-line block ×5, first 2 shown]
	v_fma_f16 v20, v20, v28, v41
	v_mul_f16_sdwa v39, v18, v29 dst_sel:DWORD dst_unused:UNUSED_PAD src0_sel:DWORD src1_sel:WORD_1
	v_fma_f16 v9, v9, v31, -v37
	v_fma_f16 v17, v17, v30, v38
	v_fma_f16 v21, v21, v32, v46
	;; [unrolled: 1-line block ×3, first 2 shown]
	v_fma_f16 v13, v13, v36, -v40
	v_fma_f16 v19, v19, v36, v25
	v_fma_f16 v12, v12, v28, -v42
	v_fma_f16 v10, v10, v32, -v45
	;; [unrolled: 1-line block ×3, first 2 shown]
	v_fma_f16 v18, v18, v29, v27
	v_fma_f16 v7, v7, v29, -v39
	v_sub_f16_e32 v27, v9, v11
	v_sub_f16_e32 v28, v13, v15
	;; [unrolled: 1-line block ×8, first 2 shown]
	v_add_f16_e32 v40, v17, v20
	v_add_f16_e32 v43, v16, v19
	v_sub_f16_e32 v38, v22, v16
	v_sub_f16_e32 v39, v23, v19
	;; [unrolled: 1-line block ×4, first 2 shown]
	v_add_f16_e32 v27, v27, v28
	v_add_f16_e32 v28, v29, v30
	;; [unrolled: 1-line block ×4, first 2 shown]
	v_fma_f16 v32, v40, -0.5, v35
	v_fma_f16 v36, v43, -0.5, v18
	v_sub_f16_e32 v42, v8, v12
	v_sub_f16_e32 v45, v9, v13
	v_add_f16_e32 v31, v38, v39
	v_fma_f16 v38, v41, s14, v32
	v_fma_f16 v32, v41, s8, v32
	;; [unrolled: 1-line block ×4, first 2 shown]
	v_add_f16_e32 v46, v9, v13
	v_fma_f16 v38, v42, s7, v38
	v_fma_f16 v32, v42, s9, v32
	;; [unrolled: 1-line block ×4, first 2 shown]
	v_sub_f16_e32 v25, v17, v21
	v_sub_f16_e32 v26, v20, v24
	v_fma_f16 v37, v46, -0.5, v7
	v_fma_f16 v38, v29, s6, v38
	v_fma_f16 v29, v29, s6, v32
	;; [unrolled: 1-line block ×4, first 2 shown]
	v_sub_f16_e32 v36, v22, v23
	v_add_f16_e32 v25, v25, v26
	v_sub_f16_e32 v26, v16, v19
	v_fma_f16 v39, v36, s8, v37
	v_fma_f16 v37, v36, s14, v37
	;; [unrolled: 1-line block ×6, first 2 shown]
	v_add_f16_e32 v37, v21, v24
	v_fma_f16 v37, v37, -0.5, v35
	v_fma_f16 v40, v42, s8, v37
	v_fma_f16 v37, v42, s14, v37
	;; [unrolled: 1-line block ×6, first 2 shown]
	v_add_f16_e32 v37, v22, v23
	v_add_f16_e32 v16, v18, v16
	v_fma_f16 v37, v37, -0.5, v18
	v_add_f16_e32 v16, v16, v22
	v_fma_f16 v41, v45, s8, v37
	v_fma_f16 v37, v45, s14, v37
	v_add_f16_e32 v16, v16, v23
	v_fma_f16 v41, v44, s7, v41
	v_fma_f16 v37, v44, s9, v37
	v_add_f16_e32 v16, v16, v19
	v_sub_f16_e32 v18, v8, v10
	v_sub_f16_e32 v19, v12, v14
	v_fma_f16 v41, v28, s6, v41
	v_fma_f16 v28, v28, s6, v37
	v_add_f16_e32 v37, v11, v15
	v_add_f16_e32 v18, v18, v19
	v_add_f16_e32 v19, v35, v17
	v_fma_f16 v37, v37, -0.5, v7
	v_add_f16_e32 v19, v19, v21
	v_fma_f16 v42, v26, s14, v37
	v_fma_f16 v26, v26, s8, v37
	v_add_f16_e32 v19, v19, v24
	v_fma_f16 v37, v36, s9, v42
	v_fma_f16 v26, v36, s7, v26
	v_add_f16_e32 v19, v19, v20
	v_sub_f16_e32 v17, v17, v20
	v_sub_f16_e32 v20, v21, v24
	v_add_f16_e32 v23, v10, v14
	v_add_f16_e32 v24, v8, v12
	v_fma_f16 v36, v27, s6, v37
	v_fma_f16 v26, v27, s6, v26
	v_fma_f16 v23, v23, -0.5, v6
	v_fma_f16 v24, v24, -0.5, v6
	v_add_f16_e32 v6, v6, v8
	v_sub_f16_e32 v8, v10, v8
	v_sub_f16_e32 v27, v14, v12
	v_mul_f16_e32 v35, 0x34f2, v39
	v_add_f16_e32 v8, v8, v27
	v_mul_f16_e32 v27, 0x34f2, v32
	v_fma_f16 v32, v32, s8, -v35
	v_fma_f16 v35, v20, s8, v24
	v_fma_f16 v24, v20, s14, v24
	;; [unrolled: 1-line block ×6, first 2 shown]
	v_mul_f16_e32 v24, 0xbb9c, v30
	v_fma_f16 v24, v31, s6, v24
	v_mul_f16_e32 v31, 0x3b9c, v31
	v_fma_f16 v30, v30, s6, v31
	v_fma_f16 v31, v17, s14, v23
	v_fma_f16 v17, v17, s8, v23
	v_add_f16_e32 v7, v7, v9
	v_fma_f16 v23, v20, s9, v31
	v_fma_f16 v17, v20, s7, v17
	v_add_f16_e32 v6, v6, v10
	v_add_f16_e32 v7, v7, v11
	v_fma_f16 v20, v18, s6, v23
	v_fma_f16 v17, v18, s6, v17
	s_movk_i32 s6, 0x3a79
	v_mul_f16_e32 v23, 0x38b4, v28
	v_add_f16_e32 v6, v6, v14
	v_add_f16_e32 v7, v7, v15
	v_mul_f16_e32 v21, 0x3a79, v41
	v_mul_f16_e32 v18, 0xb8b4, v26
	v_fma_f16 v23, v26, s6, v23
	v_add_f16_e32 v6, v6, v12
	v_add_f16_e32 v7, v7, v13
	v_fma_f16 v21, v36, s9, -v21
	v_fma_f16 v27, v39, s14, -v27
	v_fma_f16 v18, v28, s6, v18
	v_sub_f16_e32 v26, v17, v23
	v_add_f16_e32 v17, v17, v23
	v_sub_f16_e32 v23, v6, v7
	v_add_f16_e32 v6, v6, v7
	v_mov_b32_e32 v7, 2
	v_mul_f16_e32 v22, 0x3a79, v36
	v_sub_f16_e32 v9, v40, v21
	v_add_f16_e32 v10, v40, v21
	v_sub_f16_e32 v11, v38, v27
	v_add_f16_e32 v12, v38, v27
	;; [unrolled: 2-line block ×4, first 2 shown]
	v_lshlrev_b32_sdwa v7, v7, v34 dst_sel:DWORD dst_unused:UNUSED_PAD src0_sel:DWORD src1_sel:BYTE_0
	v_mul_u32_u24_e32 v27, 0xc8, v33
	v_fma_f16 v22, v41, s7, -v22
	v_sub_f16_e32 v13, v29, v24
	v_add_f16_e32 v14, v29, v24
	v_add_f16_e32 v24, v35, v32
	v_sub_f16_e32 v25, v8, v30
	v_add_f16_e32 v8, v8, v30
	v_add3_u32 v7, 0, v27, v7
	v_pack_b32_f16 v6, v6, v16
	v_pack_b32_f16 v16, v17, v18
	v_sub_f16_e32 v19, v20, v22
	v_add_f16_e32 v20, v20, v22
	ds_write2_b32 v7, v6, v16 offset1:5
	v_pack_b32_f16 v6, v8, v14
	v_pack_b32_f16 v8, v24, v12
	ds_write2_b32 v7, v6, v8 offset0:10 offset1:15
	v_pack_b32_f16 v6, v20, v10
	v_pack_b32_f16 v8, v23, v21
	v_sub_f16_e32 v22, v35, v32
	ds_write2_b32 v7, v6, v8 offset0:20 offset1:25
	v_pack_b32_f16 v6, v26, v15
	v_pack_b32_f16 v8, v25, v13
	ds_write2_b32 v7, v6, v8 offset0:30 offset1:35
	v_pack_b32_f16 v6, v22, v11
	v_pack_b32_f16 v8, v19, v9
	ds_write2_b32 v7, v6, v8 offset0:40 offset1:45
.LBB0_17:
	s_or_b64 exec, exec, s[2:3]
	v_mov_b32_e32 v6, 41
	v_mul_lo_u16_sdwa v6, v5, v6 dst_sel:DWORD dst_unused:UNUSED_PAD src0_sel:BYTE_0 src1_sel:DWORD
	v_lshrrev_b16_e32 v14, 11, v6
	v_mul_lo_u16_e32 v6, 50, v14
	v_sub_u16_e32 v15, v5, v6
	v_mov_b32_e32 v6, 4
	v_lshlrev_b32_sdwa v6, v6, v15 dst_sel:DWORD dst_unused:UNUSED_PAD src0_sel:DWORD src1_sel:BYTE_0
	s_waitcnt lgkmcnt(0)
	s_barrier
	global_load_dwordx4 v[6:9], v6, s[12:13] offset:180
	ds_read2_b32 v[10:11], v0 offset1:250
	v_add_u32_e32 v16, 0x7c0, v0
	ds_read_u16 v17, v0 offset:2
	ds_read_b32 v18, v0 offset:4000
	ds_read2_b32 v[12:13], v16 offset0:4 offset1:254
	v_mov_b32_e32 v19, 2
	v_lshlrev_b32_sdwa v15, v19, v15 dst_sel:DWORD dst_unused:UNUSED_PAD src0_sel:DWORD src1_sel:BYTE_0
	s_waitcnt lgkmcnt(3)
	v_lshrrev_b32_e32 v19, 16, v11
	s_waitcnt lgkmcnt(1)
	v_lshrrev_b32_e32 v20, 16, v18
	;; [unrolled: 2-line block ×3, first 2 shown]
	v_lshrrev_b32_e32 v22, 16, v13
	s_movk_i32 s7, 0x3b9c
	s_mov_b32 s9, 0xbb9c
	s_movk_i32 s6, 0x38b4
	s_mov_b32 s14, 0xb8b4
	s_movk_i32 s8, 0x34f2
	s_waitcnt vmcnt(0)
	s_barrier
	v_mul_f16_sdwa v23, v6, v19 dst_sel:DWORD dst_unused:UNUSED_PAD src0_sel:WORD_1 src1_sel:DWORD
	v_mul_f16_sdwa v24, v6, v11 dst_sel:DWORD dst_unused:UNUSED_PAD src0_sel:WORD_1 src1_sel:DWORD
	;; [unrolled: 1-line block ×8, first 2 shown]
	v_fma_f16 v11, v6, v11, -v23
	v_fma_f16 v6, v6, v19, v24
	v_fma_f16 v12, v7, v12, -v25
	v_fma_f16 v7, v7, v21, v26
	;; [unrolled: 2-line block ×4, first 2 shown]
	v_add_f16_e32 v28, v17, v6
	v_add_f16_e32 v19, v11, v10
	;; [unrolled: 1-line block ×3, first 2 shown]
	v_sub_f16_e32 v21, v6, v9
	v_sub_f16_e32 v22, v7, v8
	;; [unrolled: 1-line block ×4, first 2 shown]
	v_add_f16_e32 v25, v11, v18
	v_add_f16_e32 v29, v7, v8
	v_sub_f16_e32 v31, v6, v7
	v_add_f16_e32 v33, v6, v9
	v_sub_f16_e32 v6, v7, v6
	v_add_f16_e32 v7, v28, v7
	v_sub_f16_e32 v26, v12, v11
	v_sub_f16_e32 v27, v13, v18
	v_sub_f16_e32 v11, v11, v18
	;; [unrolled: 1-line block ×3, first 2 shown]
	v_add_f16_e32 v12, v19, v12
	v_fma_f16 v19, v20, -0.5, v10
	v_add_f16_e32 v20, v23, v24
	v_fma_f16 v10, v25, -0.5, v10
	v_fma_f16 v24, v29, -0.5, v17
	;; [unrolled: 1-line block ×3, first 2 shown]
	v_add_f16_e32 v7, v7, v8
	v_sub_f16_e32 v32, v9, v8
	v_add_f16_e32 v23, v26, v27
	v_add_f16_e32 v12, v12, v13
	v_fma_f16 v13, v21, s7, v19
	v_fma_f16 v19, v21, s9, v19
	;; [unrolled: 1-line block ×7, first 2 shown]
	v_add_f16_e32 v7, v7, v9
	v_sub_f16_e32 v8, v8, v9
	v_fma_f16 v9, v30, s9, v17
	v_add_f16_e32 v25, v31, v32
	v_add_f16_e32 v12, v12, v18
	v_fma_f16 v13, v22, s6, v13
	v_fma_f16 v18, v22, s14, v19
	;; [unrolled: 1-line block ×7, first 2 shown]
	v_add_f16_e32 v6, v6, v8
	v_fma_f16 v9, v11, s6, v9
	v_fma_f16 v13, v20, s8, v13
	;; [unrolled: 1-line block ×6, first 2 shown]
	v_mul_u32_u24_e32 v9, 0x3e8, v14
	v_fma_f16 v19, v23, s8, v19
	v_fma_f16 v10, v23, s8, v10
	v_add3_u32 v9, 0, v9, v15
	v_pack_b32_f16 v7, v12, v7
	v_pack_b32_f16 v11, v13, v20
	v_fma_f16 v21, v25, s8, v22
	ds_write2_b32 v9, v7, v11 offset1:50
	v_pack_b32_f16 v7, v19, v8
	v_pack_b32_f16 v6, v10, v6
	ds_write2_b32 v9, v7, v6 offset0:100 offset1:150
	v_pack_b32_f16 v6, v18, v21
	ds_write_b32 v9, v6 offset:800
	v_lshlrev_b32_e32 v6, 2, v5
	v_mov_b32_e32 v7, 0
	v_lshlrev_b64 v[8:9], 2, v[6:7]
	v_mov_b32_e32 v10, s13
	v_add_co_u32_e64 v8, s[2:3], s12, v8
	v_addc_co_u32_e64 v9, s[2:3], v10, v9, s[2:3]
	s_waitcnt lgkmcnt(0)
	s_barrier
	global_load_dwordx4 v[8:11], v[8:9], off offset:980
	ds_read2_b32 v[12:13], v0 offset1:250
	ds_read2_b32 v[14:15], v16 offset0:4 offset1:254
	ds_read_b32 v17, v0 offset:4000
	ds_read_u16 v18, v0 offset:2
	s_waitcnt lgkmcnt(0)
	v_lshrrev_b32_e32 v19, 16, v13
	v_lshrrev_b32_e32 v20, 16, v14
	;; [unrolled: 1-line block ×4, first 2 shown]
	s_waitcnt vmcnt(0)
	s_barrier
	v_cmp_ne_u32_e64 s[2:3], 0, v5
	v_mul_f16_sdwa v25, v9, v20 dst_sel:DWORD dst_unused:UNUSED_PAD src0_sel:WORD_1 src1_sel:DWORD
	v_mul_f16_sdwa v27, v10, v21 dst_sel:DWORD dst_unused:UNUSED_PAD src0_sel:WORD_1 src1_sel:DWORD
	;; [unrolled: 1-line block ×8, first 2 shown]
	v_fma_f16 v14, v9, v14, -v25
	v_fma_f16 v15, v10, v15, -v27
	;; [unrolled: 1-line block ×3, first 2 shown]
	v_fma_f16 v8, v8, v19, v24
	v_fma_f16 v9, v9, v20, v26
	v_fma_f16 v17, v11, v17, -v29
	v_fma_f16 v11, v11, v22, v30
	v_add_f16_e32 v20, v14, v15
	v_fma_f16 v10, v10, v21, v28
	v_sub_f16_e32 v21, v8, v11
	v_sub_f16_e32 v23, v13, v14
	;; [unrolled: 1-line block ×3, first 2 shown]
	v_add_f16_e32 v25, v13, v17
	v_sub_f16_e32 v26, v14, v13
	v_sub_f16_e32 v27, v15, v17
	v_add_f16_e32 v28, v18, v8
	v_fma_f16 v20, v20, -0.5, v12
	v_add_f16_e32 v19, v13, v12
	v_sub_f16_e32 v22, v9, v10
	v_add_f16_e32 v23, v23, v24
	v_fma_f16 v12, v25, -0.5, v12
	v_add_f16_e32 v24, v26, v27
	v_add_f16_e32 v25, v28, v9
	v_fma_f16 v26, v21, s7, v20
	v_fma_f16 v20, v21, s9, v20
	v_add_f16_e32 v29, v9, v10
	v_add_f16_e32 v19, v19, v14
	v_fma_f16 v27, v22, s9, v12
	v_fma_f16 v12, v22, s7, v12
	v_add_f16_e32 v25, v25, v10
	v_fma_f16 v26, v22, s6, v26
	v_fma_f16 v20, v22, s14, v20
	;; [unrolled: 3-line block ×4, first 2 shown]
	v_fma_f16 v23, v29, -0.5, v18
	v_sub_f16_e32 v13, v13, v17
	v_add_f16_e32 v19, v19, v17
	v_fma_f16 v17, v13, s9, v23
	v_sub_f16_e32 v14, v14, v15
	v_fma_f16 v22, v24, s8, v22
	v_fma_f16 v12, v24, s8, v12
	;; [unrolled: 1-line block ×3, first 2 shown]
	v_sub_f16_e32 v17, v8, v9
	v_sub_f16_e32 v24, v11, v10
	v_fma_f16 v23, v13, s7, v23
	v_add_f16_e32 v17, v17, v24
	v_fma_f16 v23, v14, s6, v23
	v_fma_f16 v15, v17, s8, v15
	;; [unrolled: 1-line block ×3, first 2 shown]
	v_add_f16_e32 v23, v8, v11
	v_fma_f16 v18, v23, -0.5, v18
	v_fma_f16 v23, v14, s7, v18
	v_sub_f16_e32 v8, v9, v8
	v_sub_f16_e32 v9, v10, v11
	v_fma_f16 v10, v14, s9, v18
	v_fma_f16 v23, v13, s14, v23
	v_add_f16_e32 v8, v8, v9
	v_fma_f16 v10, v13, s6, v10
	v_fma_f16 v9, v8, s8, v23
	;; [unrolled: 1-line block ×3, first 2 shown]
	v_pack_b32_f16 v9, v22, v9
	v_pack_b32_f16 v8, v12, v8
	;; [unrolled: 1-line block ×4, first 2 shown]
	ds_write2_b32 v16, v9, v8 offset0:4 offset1:254
	v_pack_b32_f16 v8, v20, v17
	ds_write2_b32 v0, v10, v11 offset1:250
	ds_write_b32 v0, v8 offset:4000
	s_waitcnt lgkmcnt(0)
	s_barrier
	ds_read_b32 v11, v0
	s_add_u32 s8, s12, 0x1374
	s_addc_u32 s9, s13, 0
	v_sub_u32_e32 v10, 0, v6
                                        ; implicit-def: $vgpr13
                                        ; implicit-def: $vgpr12
                                        ; implicit-def: $vgpr8_vgpr9
	s_and_saveexec_b64 s[6:7], s[2:3]
	s_xor_b64 s[6:7], exec, s[6:7]
	s_cbranch_execz .LBB0_19
; %bb.18:
	v_mov_b32_e32 v6, v7
	v_lshlrev_b64 v[7:8], 2, v[5:6]
	v_mov_b32_e32 v9, s9
	v_add_co_u32_e64 v7, s[2:3], s8, v7
	v_addc_co_u32_e64 v8, s[2:3], v9, v8, s[2:3]
	global_load_dword v7, v[7:8], off
	ds_read_b32 v8, v10 offset:5000
	s_waitcnt lgkmcnt(0)
	v_add_f16_e32 v9, v8, v11
	v_add_f16_sdwa v12, v8, v11 dst_sel:DWORD dst_unused:UNUSED_PAD src0_sel:WORD_1 src1_sel:WORD_1
	v_sub_f16_e32 v13, v11, v8
	v_sub_f16_sdwa v8, v11, v8 dst_sel:DWORD dst_unused:UNUSED_PAD src0_sel:WORD_1 src1_sel:WORD_1
	v_mul_f16_e32 v11, 0.5, v12
	v_mul_f16_e32 v12, 0.5, v13
	;; [unrolled: 1-line block ×3, first 2 shown]
	s_waitcnt vmcnt(0)
	v_lshrrev_b32_e32 v13, 16, v7
	v_mul_f16_e32 v14, v13, v12
	v_fma_f16 v15, v11, v13, v8
	v_fma_f16 v8, v11, v13, -v8
	v_fma_f16 v13, v9, 0.5, v14
	v_fma_f16 v15, -v7, v12, v15
	v_fma_f16 v9, v9, 0.5, -v14
	v_fma_f16 v8, -v7, v12, v8
	v_fma_f16 v12, v7, v11, v13
	ds_write_b16 v0, v15 offset:2
	v_fma_f16 v13, -v7, v11, v9
	ds_write_b16 v10, v8 offset:5002
	v_mov_b32_e32 v9, v6
	v_mov_b32_e32 v8, v5
                                        ; implicit-def: $vgpr11
.LBB0_19:
	s_andn2_saveexec_b64 s[2:3], s[6:7]
	s_cbranch_execz .LBB0_21
; %bb.20:
	v_mov_b32_e32 v6, 0
	ds_write_b16 v0, v6 offset:2
	ds_write_b16 v10, v6 offset:5002
	ds_read_u16 v7, v6 offset:2502
	v_mov_b32_e32 v8, 0
	s_waitcnt lgkmcnt(3)
	v_add_f16_sdwa v12, v11, v11 dst_sel:DWORD dst_unused:UNUSED_PAD src0_sel:WORD_1 src1_sel:DWORD
	v_sub_f16_sdwa v13, v11, v11 dst_sel:DWORD dst_unused:UNUSED_PAD src0_sel:DWORD src1_sel:WORD_1
	v_mov_b32_e32 v9, 0
	s_waitcnt lgkmcnt(0)
	v_xor_b32_e32 v7, 0x8000, v7
	ds_write_b16 v6, v7 offset:2502
.LBB0_21:
	s_or_b64 exec, exec, s[2:3]
	v_lshlrev_b64 v[6:7], 2, v[8:9]
	v_mov_b32_e32 v8, s9
	v_add_co_u32_e64 v6, s[2:3], s8, v6
	v_addc_co_u32_e64 v7, s[2:3], v8, v7, s[2:3]
	global_load_dword v8, v[6:7], off offset:1000
	ds_write_b16 v0, v12
	ds_write_b16 v10, v13 offset:5000
	ds_read_b32 v9, v0 offset:1000
	s_waitcnt lgkmcnt(3)
	ds_read_b32 v11, v10 offset:4000
	s_mov_b32 s6, 0xffff
	s_waitcnt lgkmcnt(0)
	v_pk_add_f16 v12, v9, v11 neg_lo:[0,1] neg_hi:[0,1]
	v_pk_add_f16 v9, v9, v11
	v_bfi_b32 v11, s6, v12, v9
	v_bfi_b32 v9, s6, v9, v12
	v_pk_mul_f16 v11, v11, 0.5 op_sel_hi:[1,0]
	v_pk_mul_f16 v9, v9, 0.5 op_sel_hi:[1,0]
	s_waitcnt vmcnt(0)
	v_pk_fma_f16 v12, v8, v11, v9 op_sel:[1,0,0]
	v_pk_mul_f16 v13, v8, v11 op_sel_hi:[0,1]
	v_pk_fma_f16 v14, v8, v11, v9 op_sel:[1,0,0] neg_lo:[1,0,0] neg_hi:[1,0,0]
	v_pk_fma_f16 v8, v8, v11, v9 op_sel:[1,0,0] neg_lo:[0,0,1] neg_hi:[0,0,1]
	v_pk_add_f16 v9, v12, v13 op_sel:[0,1] op_sel_hi:[1,0]
	v_pk_add_f16 v11, v12, v13 op_sel:[0,1] op_sel_hi:[1,0] neg_lo:[0,1] neg_hi:[0,1]
	v_pk_add_f16 v12, v14, v13 op_sel:[0,1] op_sel_hi:[1,0] neg_lo:[0,1] neg_hi:[0,1]
	;; [unrolled: 1-line block ×3, first 2 shown]
	v_bfi_b32 v9, s6, v9, v11
	v_bfi_b32 v8, s6, v12, v8
	ds_write_b32 v0, v9 offset:1000
	ds_write_b32 v10, v8 offset:4000
	s_and_saveexec_b64 s[2:3], s[0:1]
	s_cbranch_execz .LBB0_23
; %bb.22:
	global_load_dword v6, v[6:7], off offset:2000
	ds_read_b32 v7, v0 offset:2000
	ds_read_b32 v8, v10 offset:3000
	s_waitcnt lgkmcnt(0)
	v_pk_add_f16 v9, v7, v8 neg_lo:[0,1] neg_hi:[0,1]
	v_pk_add_f16 v7, v7, v8
	v_bfi_b32 v8, s6, v9, v7
	v_bfi_b32 v7, s6, v7, v9
	v_pk_mul_f16 v8, v8, 0.5 op_sel_hi:[1,0]
	v_pk_mul_f16 v7, v7, 0.5 op_sel_hi:[1,0]
	s_waitcnt vmcnt(0)
	v_pk_fma_f16 v9, v6, v8, v7 op_sel:[1,0,0]
	v_pk_mul_f16 v11, v6, v8 op_sel_hi:[0,1]
	v_pk_fma_f16 v12, v6, v8, v7 op_sel:[1,0,0] neg_lo:[1,0,0] neg_hi:[1,0,0]
	v_pk_fma_f16 v6, v6, v8, v7 op_sel:[1,0,0] neg_lo:[0,0,1] neg_hi:[0,0,1]
	v_pk_add_f16 v7, v9, v11 op_sel:[0,1] op_sel_hi:[1,0]
	v_pk_add_f16 v8, v9, v11 op_sel:[0,1] op_sel_hi:[1,0] neg_lo:[0,1] neg_hi:[0,1]
	v_pk_add_f16 v9, v12, v11 op_sel:[0,1] op_sel_hi:[1,0] neg_lo:[0,1] neg_hi:[0,1]
	;; [unrolled: 1-line block ×3, first 2 shown]
	v_bfi_b32 v7, s6, v7, v8
	v_bfi_b32 v6, s6, v9, v6
	ds_write_b32 v0, v7 offset:2000
	ds_write_b32 v10, v6 offset:3000
.LBB0_23:
	s_or_b64 exec, exec, s[2:3]
	s_waitcnt lgkmcnt(0)
	s_barrier
	s_and_saveexec_b64 s[0:1], vcc
	s_cbranch_execz .LBB0_26
; %bb.24:
	v_mul_lo_u32 v0, s5, v3
	v_mul_lo_u32 v6, s4, v4
	v_mad_u64_u32 v[3:4], s[0:1], s4, v3, 0
	v_lshlrev_b64 v[1:2], 2, v[1:2]
	v_lshl_add_u32 v9, v5, 2, 0
	v_add3_u32 v4, v4, v6, v0
	v_lshlrev_b64 v[3:4], 2, v[3:4]
	v_mov_b32_e32 v0, s11
	v_add_co_u32_e32 v3, vcc, s10, v3
	v_addc_co_u32_e32 v0, vcc, v0, v4, vcc
	v_mov_b32_e32 v6, 0
	ds_read2_b32 v[7:8], v9 offset1:250
	v_add_co_u32_e32 v1, vcc, v3, v1
	v_addc_co_u32_e32 v0, vcc, v0, v2, vcc
	v_lshlrev_b64 v[2:3], 2, v[5:6]
	v_add_u32_e32 v4, 0x7c0, v9
	v_add_co_u32_e32 v2, vcc, v1, v2
	v_addc_co_u32_e32 v3, vcc, v0, v3, vcc
	s_waitcnt lgkmcnt(0)
	global_store_dword v[2:3], v7, off
	v_add_u32_e32 v2, 0xfa, v5
	v_mov_b32_e32 v3, v6
	v_lshlrev_b64 v[2:3], 2, v[2:3]
	s_movk_i32 s0, 0xf9
	v_add_co_u32_e32 v2, vcc, v1, v2
	v_addc_co_u32_e32 v3, vcc, v0, v3, vcc
	global_store_dword v[2:3], v8, off
	v_add_u32_e32 v2, 0x1f4, v5
	v_mov_b32_e32 v3, v6
	ds_read2_b32 v[7:8], v4 offset0:4 offset1:254
	v_lshlrev_b64 v[2:3], 2, v[2:3]
	ds_read_b32 v4, v9 offset:4000
	v_add_co_u32_e32 v2, vcc, v1, v2
	v_addc_co_u32_e32 v3, vcc, v0, v3, vcc
	s_waitcnt lgkmcnt(1)
	global_store_dword v[2:3], v7, off
	v_add_u32_e32 v2, 0x2ee, v5
	v_mov_b32_e32 v3, v6
	v_lshlrev_b64 v[2:3], 2, v[2:3]
	v_add_co_u32_e32 v2, vcc, v1, v2
	v_addc_co_u32_e32 v3, vcc, v0, v3, vcc
	global_store_dword v[2:3], v8, off
	v_add_u32_e32 v2, 0x3e8, v5
	v_mov_b32_e32 v3, v6
	v_lshlrev_b64 v[2:3], 2, v[2:3]
	v_add_co_u32_e32 v2, vcc, v1, v2
	v_addc_co_u32_e32 v3, vcc, v0, v3, vcc
	v_cmp_eq_u32_e32 vcc, s0, v5
	s_waitcnt lgkmcnt(0)
	global_store_dword v[2:3], v4, off
	s_and_b64 exec, exec, vcc
	s_cbranch_execz .LBB0_26
; %bb.25:
	ds_read_b32 v3, v6 offset:5000
	v_add_co_u32_e32 v1, vcc, 0x1000, v1
	v_addc_co_u32_e32 v2, vcc, 0, v0, vcc
	s_waitcnt lgkmcnt(0)
	global_store_dword v[1:2], v3, off offset:904
.LBB0_26:
	s_endpgm
	.section	.rodata,"a",@progbits
	.p2align	6, 0x0
	.amdhsa_kernel fft_rtc_fwd_len1250_factors_5_10_5_5_wgs_250_tpt_250_halfLds_half_op_CI_CI_unitstride_sbrr_R2C_dirReg
		.amdhsa_group_segment_fixed_size 0
		.amdhsa_private_segment_fixed_size 0
		.amdhsa_kernarg_size 104
		.amdhsa_user_sgpr_count 6
		.amdhsa_user_sgpr_private_segment_buffer 1
		.amdhsa_user_sgpr_dispatch_ptr 0
		.amdhsa_user_sgpr_queue_ptr 0
		.amdhsa_user_sgpr_kernarg_segment_ptr 1
		.amdhsa_user_sgpr_dispatch_id 0
		.amdhsa_user_sgpr_flat_scratch_init 0
		.amdhsa_user_sgpr_private_segment_size 0
		.amdhsa_uses_dynamic_stack 0
		.amdhsa_system_sgpr_private_segment_wavefront_offset 0
		.amdhsa_system_sgpr_workgroup_id_x 1
		.amdhsa_system_sgpr_workgroup_id_y 0
		.amdhsa_system_sgpr_workgroup_id_z 0
		.amdhsa_system_sgpr_workgroup_info 0
		.amdhsa_system_vgpr_workitem_id 0
		.amdhsa_next_free_vgpr 48
		.amdhsa_next_free_sgpr 28
		.amdhsa_reserve_vcc 1
		.amdhsa_reserve_flat_scratch 0
		.amdhsa_float_round_mode_32 0
		.amdhsa_float_round_mode_16_64 0
		.amdhsa_float_denorm_mode_32 3
		.amdhsa_float_denorm_mode_16_64 3
		.amdhsa_dx10_clamp 1
		.amdhsa_ieee_mode 1
		.amdhsa_fp16_overflow 0
		.amdhsa_exception_fp_ieee_invalid_op 0
		.amdhsa_exception_fp_denorm_src 0
		.amdhsa_exception_fp_ieee_div_zero 0
		.amdhsa_exception_fp_ieee_overflow 0
		.amdhsa_exception_fp_ieee_underflow 0
		.amdhsa_exception_fp_ieee_inexact 0
		.amdhsa_exception_int_div_zero 0
	.end_amdhsa_kernel
	.text
.Lfunc_end0:
	.size	fft_rtc_fwd_len1250_factors_5_10_5_5_wgs_250_tpt_250_halfLds_half_op_CI_CI_unitstride_sbrr_R2C_dirReg, .Lfunc_end0-fft_rtc_fwd_len1250_factors_5_10_5_5_wgs_250_tpt_250_halfLds_half_op_CI_CI_unitstride_sbrr_R2C_dirReg
                                        ; -- End function
	.section	.AMDGPU.csdata,"",@progbits
; Kernel info:
; codeLenInByte = 5900
; NumSgprs: 32
; NumVgprs: 48
; ScratchSize: 0
; MemoryBound: 0
; FloatMode: 240
; IeeeMode: 1
; LDSByteSize: 0 bytes/workgroup (compile time only)
; SGPRBlocks: 3
; VGPRBlocks: 11
; NumSGPRsForWavesPerEU: 32
; NumVGPRsForWavesPerEU: 48
; Occupancy: 5
; WaveLimiterHint : 1
; COMPUTE_PGM_RSRC2:SCRATCH_EN: 0
; COMPUTE_PGM_RSRC2:USER_SGPR: 6
; COMPUTE_PGM_RSRC2:TRAP_HANDLER: 0
; COMPUTE_PGM_RSRC2:TGID_X_EN: 1
; COMPUTE_PGM_RSRC2:TGID_Y_EN: 0
; COMPUTE_PGM_RSRC2:TGID_Z_EN: 0
; COMPUTE_PGM_RSRC2:TIDIG_COMP_CNT: 0
	.type	__hip_cuid_491af3b9f82652d,@object ; @__hip_cuid_491af3b9f82652d
	.section	.bss,"aw",@nobits
	.globl	__hip_cuid_491af3b9f82652d
__hip_cuid_491af3b9f82652d:
	.byte	0                               ; 0x0
	.size	__hip_cuid_491af3b9f82652d, 1

	.ident	"AMD clang version 19.0.0git (https://github.com/RadeonOpenCompute/llvm-project roc-6.4.0 25133 c7fe45cf4b819c5991fe208aaa96edf142730f1d)"
	.section	".note.GNU-stack","",@progbits
	.addrsig
	.addrsig_sym __hip_cuid_491af3b9f82652d
	.amdgpu_metadata
---
amdhsa.kernels:
  - .args:
      - .actual_access:  read_only
        .address_space:  global
        .offset:         0
        .size:           8
        .value_kind:     global_buffer
      - .offset:         8
        .size:           8
        .value_kind:     by_value
      - .actual_access:  read_only
        .address_space:  global
        .offset:         16
        .size:           8
        .value_kind:     global_buffer
      - .actual_access:  read_only
        .address_space:  global
        .offset:         24
        .size:           8
        .value_kind:     global_buffer
      - .actual_access:  read_only
        .address_space:  global
        .offset:         32
        .size:           8
        .value_kind:     global_buffer
      - .offset:         40
        .size:           8
        .value_kind:     by_value
      - .actual_access:  read_only
        .address_space:  global
        .offset:         48
        .size:           8
        .value_kind:     global_buffer
      - .actual_access:  read_only
        .address_space:  global
        .offset:         56
        .size:           8
        .value_kind:     global_buffer
      - .offset:         64
        .size:           4
        .value_kind:     by_value
      - .actual_access:  read_only
        .address_space:  global
        .offset:         72
        .size:           8
        .value_kind:     global_buffer
      - .actual_access:  read_only
        .address_space:  global
        .offset:         80
        .size:           8
        .value_kind:     global_buffer
      - .actual_access:  read_only
        .address_space:  global
        .offset:         88
        .size:           8
        .value_kind:     global_buffer
      - .actual_access:  write_only
        .address_space:  global
        .offset:         96
        .size:           8
        .value_kind:     global_buffer
    .group_segment_fixed_size: 0
    .kernarg_segment_align: 8
    .kernarg_segment_size: 104
    .language:       OpenCL C
    .language_version:
      - 2
      - 0
    .max_flat_workgroup_size: 250
    .name:           fft_rtc_fwd_len1250_factors_5_10_5_5_wgs_250_tpt_250_halfLds_half_op_CI_CI_unitstride_sbrr_R2C_dirReg
    .private_segment_fixed_size: 0
    .sgpr_count:     32
    .sgpr_spill_count: 0
    .symbol:         fft_rtc_fwd_len1250_factors_5_10_5_5_wgs_250_tpt_250_halfLds_half_op_CI_CI_unitstride_sbrr_R2C_dirReg.kd
    .uniform_work_group_size: 1
    .uses_dynamic_stack: false
    .vgpr_count:     48
    .vgpr_spill_count: 0
    .wavefront_size: 64
amdhsa.target:   amdgcn-amd-amdhsa--gfx906
amdhsa.version:
  - 1
  - 2
...

	.end_amdgpu_metadata
